;; amdgpu-corpus repo=ROCm/rocFFT kind=compiled arch=gfx950 opt=O3
	.text
	.amdgcn_target "amdgcn-amd-amdhsa--gfx950"
	.amdhsa_code_object_version 6
	.protected	fft_rtc_back_len88_factors_11_8_wgs_121_tpt_11_halfLds_half_ip_CI_unitstride_sbrr_C2R_dirReg ; -- Begin function fft_rtc_back_len88_factors_11_8_wgs_121_tpt_11_halfLds_half_ip_CI_unitstride_sbrr_C2R_dirReg
	.globl	fft_rtc_back_len88_factors_11_8_wgs_121_tpt_11_halfLds_half_ip_CI_unitstride_sbrr_C2R_dirReg
	.p2align	8
	.type	fft_rtc_back_len88_factors_11_8_wgs_121_tpt_11_halfLds_half_ip_CI_unitstride_sbrr_C2R_dirReg,@function
fft_rtc_back_len88_factors_11_8_wgs_121_tpt_11_halfLds_half_ip_CI_unitstride_sbrr_C2R_dirReg: ; @fft_rtc_back_len88_factors_11_8_wgs_121_tpt_11_halfLds_half_ip_CI_unitstride_sbrr_C2R_dirReg
; %bb.0:
	s_load_dwordx2 s[8:9], s[0:1], 0x50
	s_load_dwordx4 s[4:7], s[0:1], 0x0
	s_load_dwordx2 s[10:11], s[0:1], 0x18
	v_mul_u32_u24_e32 v1, 0x1746, v0
	v_lshrrev_b32_e32 v2, 16, v1
	v_mad_u64_u32 v[2:3], s[2:3], s2, 11, v[2:3]
	v_mov_b32_e32 v6, 0
	v_mov_b32_e32 v3, v6
	s_waitcnt lgkmcnt(0)
	v_cmp_lt_u64_e64 s[2:3], s[6:7], 2
	s_and_b64 vcc, exec, s[2:3]
	v_mov_b64_e32 v[4:5], 0
	v_mov_b64_e32 v[10:11], v[2:3]
	s_cbranch_vccnz .LBB0_8
; %bb.1:
	s_load_dwordx2 s[2:3], s[0:1], 0x10
	s_add_u32 s12, s10, 8
	s_addc_u32 s13, s11, 0
	s_mov_b64 s[14:15], 1
	v_mov_b64_e32 v[4:5], 0
	s_waitcnt lgkmcnt(0)
	s_add_u32 s16, s2, 8
	s_addc_u32 s17, s3, 0
	v_mov_b64_e32 v[8:9], v[2:3]
.LBB0_2:                                ; =>This Inner Loop Header: Depth=1
	s_load_dwordx2 s[18:19], s[16:17], 0x0
                                        ; implicit-def: $vgpr10_vgpr11
	s_waitcnt lgkmcnt(0)
	v_or_b32_e32 v7, s19, v9
	v_cmp_ne_u64_e32 vcc, 0, v[6:7]
	s_and_saveexec_b64 s[2:3], vcc
	s_xor_b64 s[20:21], exec, s[2:3]
	s_cbranch_execz .LBB0_4
; %bb.3:                                ;   in Loop: Header=BB0_2 Depth=1
	v_cvt_f32_u32_e32 v1, s18
	v_cvt_f32_u32_e32 v3, s19
	s_sub_u32 s2, 0, s18
	s_subb_u32 s3, 0, s19
	v_fmac_f32_e32 v1, 0x4f800000, v3
	v_rcp_f32_e32 v1, v1
	s_nop 0
	v_mul_f32_e32 v1, 0x5f7ffffc, v1
	v_mul_f32_e32 v3, 0x2f800000, v1
	v_trunc_f32_e32 v3, v3
	v_fmac_f32_e32 v1, 0xcf800000, v3
	v_cvt_u32_f32_e32 v3, v3
	v_cvt_u32_f32_e32 v1, v1
	v_mul_lo_u32 v7, s2, v3
	v_mul_hi_u32 v10, s2, v1
	v_mul_lo_u32 v11, s3, v1
	v_add_u32_e32 v7, v10, v7
	v_mul_lo_u32 v14, s2, v1
	v_add_u32_e32 v7, v7, v11
	v_mul_hi_u32 v10, v1, v14
	v_mul_hi_u32 v13, v1, v7
	v_mul_lo_u32 v12, v1, v7
	v_mov_b32_e32 v11, v6
	v_lshl_add_u64 v[10:11], v[10:11], 0, v[12:13]
	v_mul_hi_u32 v13, v3, v14
	v_mul_lo_u32 v14, v3, v14
	v_add_co_u32_e32 v10, vcc, v10, v14
	v_mul_hi_u32 v12, v3, v7
	s_nop 0
	v_addc_co_u32_e32 v10, vcc, v11, v13, vcc
	v_mov_b32_e32 v11, v6
	s_nop 0
	v_addc_co_u32_e32 v13, vcc, 0, v12, vcc
	v_mul_lo_u32 v12, v3, v7
	v_lshl_add_u64 v[10:11], v[10:11], 0, v[12:13]
	v_add_co_u32_e32 v1, vcc, v1, v10
	v_mul_hi_u32 v10, s2, v1
	s_nop 0
	v_addc_co_u32_e32 v3, vcc, v3, v11, vcc
	v_mul_lo_u32 v7, s2, v3
	v_add_u32_e32 v7, v10, v7
	v_mul_lo_u32 v10, s3, v1
	v_add_u32_e32 v7, v7, v10
	v_mul_lo_u32 v12, s2, v1
	v_mul_hi_u32 v15, v3, v12
	v_mul_lo_u32 v16, v3, v12
	v_mul_hi_u32 v11, v1, v7
	;; [unrolled: 2-line block ×3, first 2 shown]
	v_mov_b32_e32 v13, v6
	v_lshl_add_u64 v[10:11], v[12:13], 0, v[10:11]
	v_add_co_u32_e32 v10, vcc, v10, v16
	v_mul_hi_u32 v14, v3, v7
	s_nop 0
	v_addc_co_u32_e32 v10, vcc, v11, v15, vcc
	v_mul_lo_u32 v12, v3, v7
	s_nop 0
	v_addc_co_u32_e32 v13, vcc, 0, v14, vcc
	v_mov_b32_e32 v11, v6
	v_lshl_add_u64 v[10:11], v[10:11], 0, v[12:13]
	v_add_co_u32_e32 v1, vcc, v1, v10
	v_mul_hi_u32 v12, v8, v1
	s_nop 0
	v_addc_co_u32_e32 v3, vcc, v3, v11, vcc
	v_mad_u64_u32 v[10:11], s[2:3], v8, v3, 0
	v_mov_b32_e32 v13, v6
	v_lshl_add_u64 v[10:11], v[12:13], 0, v[10:11]
	v_mad_u64_u32 v[14:15], s[2:3], v9, v1, 0
	v_add_co_u32_e32 v1, vcc, v10, v14
	v_mad_u64_u32 v[12:13], s[2:3], v9, v3, 0
	s_nop 0
	v_addc_co_u32_e32 v10, vcc, v11, v15, vcc
	v_mov_b32_e32 v11, v6
	s_nop 0
	v_addc_co_u32_e32 v13, vcc, 0, v13, vcc
	v_lshl_add_u64 v[10:11], v[10:11], 0, v[12:13]
	v_mul_lo_u32 v1, s19, v10
	v_mul_lo_u32 v3, s18, v11
	v_mad_u64_u32 v[12:13], s[2:3], s18, v10, 0
	v_add3_u32 v1, v13, v3, v1
	v_sub_u32_e32 v3, v9, v1
	v_mov_b32_e32 v7, s19
	v_sub_co_u32_e32 v16, vcc, v8, v12
	v_lshl_add_u64 v[14:15], v[10:11], 0, 1
	s_nop 0
	v_subb_co_u32_e64 v3, s[2:3], v3, v7, vcc
	v_subrev_co_u32_e64 v7, s[2:3], s18, v16
	v_subb_co_u32_e32 v1, vcc, v9, v1, vcc
	s_nop 0
	v_subbrev_co_u32_e64 v3, s[2:3], 0, v3, s[2:3]
	v_cmp_le_u32_e64 s[2:3], s19, v3
	v_cmp_le_u32_e32 vcc, s19, v1
	s_nop 0
	v_cndmask_b32_e64 v12, 0, -1, s[2:3]
	v_cmp_le_u32_e64 s[2:3], s18, v7
	s_nop 1
	v_cndmask_b32_e64 v7, 0, -1, s[2:3]
	v_cmp_eq_u32_e64 s[2:3], s19, v3
	s_nop 1
	v_cndmask_b32_e64 v3, v12, v7, s[2:3]
	v_lshl_add_u64 v[12:13], v[10:11], 0, 2
	v_cmp_ne_u32_e64 s[2:3], 0, v3
	v_cndmask_b32_e64 v7, 0, -1, vcc
	v_cmp_le_u32_e32 vcc, s18, v16
	v_cndmask_b32_e64 v3, v15, v13, s[2:3]
	s_nop 0
	v_cndmask_b32_e64 v13, 0, -1, vcc
	v_cmp_eq_u32_e32 vcc, s19, v1
	s_nop 1
	v_cndmask_b32_e32 v1, v7, v13, vcc
	v_cmp_ne_u32_e32 vcc, 0, v1
	v_cndmask_b32_e64 v1, v14, v12, s[2:3]
	s_nop 0
	v_cndmask_b32_e32 v11, v11, v3, vcc
	v_cndmask_b32_e32 v10, v10, v1, vcc
.LBB0_4:                                ;   in Loop: Header=BB0_2 Depth=1
	s_andn2_saveexec_b64 s[2:3], s[20:21]
	s_cbranch_execz .LBB0_6
; %bb.5:                                ;   in Loop: Header=BB0_2 Depth=1
	v_cvt_f32_u32_e32 v1, s18
	s_sub_i32 s20, 0, s18
	v_mov_b32_e32 v11, v6
	v_rcp_iflag_f32_e32 v1, v1
	s_nop 0
	v_mul_f32_e32 v1, 0x4f7ffffe, v1
	v_cvt_u32_f32_e32 v1, v1
	v_mul_lo_u32 v3, s20, v1
	v_mul_hi_u32 v3, v1, v3
	v_add_u32_e32 v1, v1, v3
	v_mul_hi_u32 v1, v8, v1
	v_mul_lo_u32 v3, v1, s18
	v_sub_u32_e32 v3, v8, v3
	v_add_u32_e32 v7, 1, v1
	v_subrev_u32_e32 v10, s18, v3
	v_cmp_le_u32_e32 vcc, s18, v3
	s_nop 1
	v_cndmask_b32_e32 v3, v3, v10, vcc
	v_cndmask_b32_e32 v1, v1, v7, vcc
	v_add_u32_e32 v7, 1, v1
	v_cmp_le_u32_e32 vcc, s18, v3
	s_nop 1
	v_cndmask_b32_e32 v10, v1, v7, vcc
.LBB0_6:                                ;   in Loop: Header=BB0_2 Depth=1
	s_or_b64 exec, exec, s[2:3]
	v_mad_u64_u32 v[12:13], s[2:3], v10, s18, 0
	s_load_dwordx2 s[2:3], s[12:13], 0x0
	s_add_u32 s14, s14, 1
	v_mul_lo_u32 v1, v11, s18
	v_mul_lo_u32 v3, v10, s19
	s_addc_u32 s15, s15, 0
	v_add3_u32 v1, v13, v3, v1
	v_sub_co_u32_e32 v3, vcc, v8, v12
	s_add_u32 s12, s12, 8
	s_nop 0
	v_subb_co_u32_e32 v1, vcc, v9, v1, vcc
	s_addc_u32 s13, s13, 0
	v_mov_b64_e32 v[8:9], s[6:7]
	s_waitcnt lgkmcnt(0)
	v_mul_lo_u32 v1, s2, v1
	v_mul_lo_u32 v7, s3, v3
	v_mad_u64_u32 v[4:5], s[2:3], s2, v3, v[4:5]
	s_add_u32 s16, s16, 8
	v_cmp_ge_u64_e32 vcc, s[14:15], v[8:9]
	v_add3_u32 v5, v7, v5, v1
	s_addc_u32 s17, s17, 0
	s_cbranch_vccnz .LBB0_8
; %bb.7:                                ;   in Loop: Header=BB0_2 Depth=1
	v_mov_b64_e32 v[8:9], v[10:11]
	s_branch .LBB0_2
.LBB0_8:
	s_lshl_b64 s[2:3], s[6:7], 3
	s_add_u32 s2, s10, s2
	s_addc_u32 s3, s11, s3
	s_load_dwordx2 s[6:7], s[2:3], 0x0
	s_load_dwordx2 s[10:11], s[0:1], 0x20
	s_waitcnt lgkmcnt(0)
	v_mad_u64_u32 v[4:5], s[0:1], s6, v10, v[4:5]
	v_mul_lo_u32 v1, s6, v11
	v_mul_lo_u32 v3, s7, v10
	s_mov_b32 s0, 0xba2e8ba3
	v_add3_u32 v5, v3, v5, v1
	v_mul_hi_u32 v1, v2, s0
	v_lshrrev_b32_e32 v1, 3, v1
	v_mul_lo_u32 v1, v1, 11
	v_sub_u32_e32 v1, v2, v1
	s_mov_b32 s0, 0x1745d175
	v_mul_u32_u24_e32 v6, 0x59, v1
	v_mul_hi_u32 v1, v0, s0
	v_mul_u32_u24_e32 v1, 11, v1
	v_cmp_gt_u64_e32 vcc, s[10:11], v[10:11]
	v_sub_u32_e32 v2, v0, v1
	v_lshl_add_u64 v[0:1], v[4:5], 2, s[8:9]
	v_lshlrev_b32_e32 v16, 2, v6
	s_and_saveexec_b64 s[2:3], vcc
	s_cbranch_execz .LBB0_12
; %bb.9:
	v_mov_b32_e32 v3, 0
	v_lshl_add_u64 v[4:5], v[2:3], 2, v[0:1]
	global_load_dword v7, v[4:5], off
	global_load_dword v8, v[4:5], off offset:44
	global_load_dword v9, v[4:5], off offset:88
	;; [unrolled: 1-line block ×7, first 2 shown]
	v_lshlrev_b32_e32 v3, 2, v2
	v_add3_u32 v3, 0, v16, v3
	v_cmp_eq_u32_e64 s[0:1], 10, v2
	s_waitcnt vmcnt(6)
	ds_write2_b32 v3, v7, v8 offset1:11
	s_waitcnt vmcnt(4)
	ds_write2_b32 v3, v9, v10 offset0:22 offset1:33
	s_waitcnt vmcnt(2)
	ds_write2_b32 v3, v11, v12 offset0:44 offset1:55
	;; [unrolled: 2-line block ×3, first 2 shown]
	s_and_saveexec_b64 s[6:7], s[0:1]
	s_cbranch_execz .LBB0_11
; %bb.10:
	global_load_dword v2, v[0:1], off offset:352
	s_waitcnt vmcnt(0)
	ds_write_b32 v3, v2 offset:312
	v_mov_b32_e32 v2, 10
.LBB0_11:
	s_or_b64 exec, exec, s[6:7]
.LBB0_12:
	s_or_b64 exec, exec, s[2:3]
	v_lshl_add_u32 v14, v6, 2, 0
	v_lshlrev_b32_e32 v3, 2, v2
	v_add_u32_e32 v15, v14, v3
	s_waitcnt lgkmcnt(0)
	s_barrier
	v_sub_u32_e32 v7, v14, v3
	ds_read_u16 v10, v15
	ds_read_u16 v11, v7 offset:352
	v_cmp_ne_u32_e64 s[0:1], 0, v2
                                        ; implicit-def: $vgpr4_vgpr5
	s_waitcnt lgkmcnt(0)
	v_add_f16_e32 v8, v11, v10
	v_sub_f16_e32 v9, v10, v11
	s_and_saveexec_b64 s[2:3], s[0:1]
	s_xor_b64 s[0:1], exec, s[2:3]
	s_cbranch_execz .LBB0_14
; %bb.13:
	v_mov_b32_e32 v3, 0
	v_lshl_add_u64 v[4:5], v[2:3], 2, s[4:5]
	global_load_dword v4, v[4:5], off offset:308
	ds_read_u16 v5, v7 offset:354
	ds_read_u16 v8, v15 offset:2
	v_add_f16_e32 v9, v11, v10
	v_sub_f16_e32 v10, v10, v11
	s_waitcnt lgkmcnt(0)
	v_add_f16_e32 v11, v5, v8
	v_sub_f16_e32 v5, v8, v5
	s_waitcnt vmcnt(0)
	v_lshrrev_b32_e32 v8, 16, v4
	v_fma_f16 v12, v10, v8, v9
	v_fma_f16 v13, v11, v8, v5
	v_fma_f16 v17, -v10, v8, v9
	v_fma_f16 v5, v11, v8, -v5
	v_fma_f16 v8, -v4, v11, v12
	v_fma_f16 v9, v10, v4, v13
	v_fma_f16 v11, v4, v11, v17
	;; [unrolled: 1-line block ×3, first 2 shown]
	v_pack_b32_f16 v4, v11, v4
	ds_write_b32 v7, v4 offset:352
	v_mov_b64_e32 v[4:5], v[2:3]
.LBB0_14:
	s_andn2_saveexec_b64 s[0:1], s[0:1]
	s_cbranch_execz .LBB0_16
; %bb.15:
	ds_read_b32 v3, v14 offset:176
	s_mov_b32 s2, 0xc0004000
	v_mov_b64_e32 v[4:5], 0
	s_waitcnt lgkmcnt(0)
	v_pk_mul_f16 v3, v3, s2
	ds_write_b32 v14, v3 offset:176
.LBB0_16:
	s_or_b64 exec, exec, s[0:1]
	s_add_u32 s0, s4, 0x134
	s_addc_u32 s1, s5, 0
	v_lshl_add_u64 v[4:5], v[4:5], 2, s[0:1]
	global_load_dword v3, v[4:5], off offset:44
	global_load_dword v10, v[4:5], off offset:88
	;; [unrolled: 1-line block ×3, first 2 shown]
	s_mov_b32 s0, 0x5040100
	v_perm_b32 v4, v9, v8, s0
	ds_write_b32 v15, v4
	ds_read_b32 v4, v15 offset:44
	ds_read_b32 v5, v7 offset:308
	v_lshl_add_u32 v18, v2, 2, 0
	v_cmp_gt_u32_e64 s[0:1], 8, v2
	s_waitcnt lgkmcnt(0)
	v_add_f16_e32 v8, v4, v5
	v_add_f16_sdwa v9, v5, v4 dst_sel:DWORD dst_unused:UNUSED_PAD src0_sel:WORD_1 src1_sel:WORD_1
	v_sub_f16_e32 v12, v4, v5
	v_sub_f16_sdwa v4, v4, v5 dst_sel:DWORD dst_unused:UNUSED_PAD src0_sel:WORD_1 src1_sel:WORD_1
	s_waitcnt vmcnt(2)
	v_lshrrev_b32_e32 v5, 16, v3
	v_fma_f16 v13, v12, v5, v8
	v_fma_f16 v17, v9, v5, v4
	v_fma_f16 v8, -v12, v5, v8
	v_fma_f16 v4, v9, v5, -v4
	v_fma_f16 v5, -v3, v9, v13
	v_fma_f16 v13, v12, v3, v17
	v_fma_f16 v8, v3, v9, v8
	;; [unrolled: 1-line block ×3, first 2 shown]
	v_pack_b32_f16 v4, v5, v13
	v_pack_b32_f16 v3, v8, v3
	ds_write_b32 v15, v4 offset:44
	ds_write_b32 v7, v3 offset:308
	ds_read_b32 v3, v15 offset:88
	ds_read_b32 v4, v7 offset:264
	s_waitcnt vmcnt(1)
	v_lshrrev_b32_e32 v5, 16, v10
	s_waitcnt lgkmcnt(0)
	v_add_f16_e32 v8, v3, v4
	v_add_f16_sdwa v9, v4, v3 dst_sel:DWORD dst_unused:UNUSED_PAD src0_sel:WORD_1 src1_sel:WORD_1
	v_sub_f16_e32 v12, v3, v4
	v_sub_f16_sdwa v3, v3, v4 dst_sel:DWORD dst_unused:UNUSED_PAD src0_sel:WORD_1 src1_sel:WORD_1
	v_fma_f16 v4, v12, v5, v8
	v_fma_f16 v13, v9, v5, v3
	v_fma_f16 v8, -v12, v5, v8
	v_fma_f16 v3, v9, v5, -v3
	v_fma_f16 v4, -v10, v9, v4
	v_fma_f16 v5, v12, v10, v13
	v_fma_f16 v8, v10, v9, v8
	v_fma_f16 v3, v12, v10, v3
	v_pack_b32_f16 v4, v4, v5
	v_pack_b32_f16 v3, v8, v3
	ds_write_b32 v15, v4 offset:88
	ds_write_b32 v7, v3 offset:264
	ds_read_b32 v4, v15 offset:132
	ds_read_b32 v5, v7 offset:220
	v_lshl_add_u32 v3, v6, 2, v18
	s_waitcnt vmcnt(0)
	v_lshrrev_b32_e32 v6, 16, v11
	s_waitcnt lgkmcnt(0)
	v_add_f16_e32 v8, v4, v5
	v_add_f16_sdwa v9, v5, v4 dst_sel:DWORD dst_unused:UNUSED_PAD src0_sel:WORD_1 src1_sel:WORD_1
	v_sub_f16_e32 v10, v4, v5
	v_sub_f16_sdwa v4, v4, v5 dst_sel:DWORD dst_unused:UNUSED_PAD src0_sel:WORD_1 src1_sel:WORD_1
	v_fma_f16 v5, v10, v6, v8
	v_fma_f16 v12, v9, v6, v4
	v_fma_f16 v8, -v10, v6, v8
	v_fma_f16 v4, v9, v6, -v4
	v_fma_f16 v5, -v11, v9, v5
	v_fma_f16 v6, v10, v11, v12
	v_fma_f16 v8, v11, v9, v8
	;; [unrolled: 1-line block ×3, first 2 shown]
	v_pack_b32_f16 v5, v5, v6
	v_pack_b32_f16 v4, v8, v4
	ds_write_b32 v15, v5 offset:132
	ds_write_b32 v7, v4 offset:220
	s_waitcnt lgkmcnt(0)
	s_barrier
	s_barrier
	ds_read_b32 v17, v15
	ds_read2_b32 v[12:13], v3 offset0:8 offset1:16
	ds_read2_b32 v[10:11], v3 offset0:24 offset1:32
	;; [unrolled: 1-line block ×5, first 2 shown]
	s_waitcnt lgkmcnt(0)
	s_barrier
	s_and_saveexec_b64 s[2:3], s[0:1]
	s_cbranch_execz .LBB0_18
; %bb.17:
	v_pk_add_f16 v19, v12, v5 neg_lo:[0,1] neg_hi:[0,1]
	v_pk_add_f16 v21, v5, v12
	v_mul_f16_e32 v20, 0xba0c, v19
	v_lshrrev_b32_e32 v22, 16, v21
	s_mov_b32 s0, 0xb93d
	v_pk_add_f16 v24, v13, v4 neg_lo:[0,1] neg_hi:[0,1]
	v_pk_add_f16 v26, v4, v13
	v_fma_f16 v23, v22, s0, v20
	v_mul_f16_e32 v25, 0x3beb, v24
	v_lshrrev_b32_e32 v27, 16, v26
	s_mov_b32 s7, 0xb08e
	v_add_f16_sdwa v23, v17, v23 dst_sel:DWORD dst_unused:UNUSED_PAD src0_sel:WORD_1 src1_sel:DWORD
	v_fma_f16 v28, v27, s7, v25
	v_add_f16_e32 v23, v28, v23
	v_pk_add_f16 v28, v10, v7 neg_lo:[0,1] neg_hi:[0,1]
	v_pk_add_f16 v30, v7, v10
	v_mul_f16_e32 v29, 0xb853, v28
	v_lshrrev_b32_e32 v31, 16, v30
	s_movk_i32 s9, 0x3abb
	s_mov_b32 s1, 0xba0c
	v_fma_f16 v32, v31, s9, v29
	v_fma_f16 v20, v22, s0, -v20
	s_movk_i32 s11, 0x3beb
	v_add_f16_e32 v23, v32, v23
	v_pk_add_f16 v32, v11, v6 neg_lo:[0,1] neg_hi:[0,1]
	v_pk_add_f16 v34, v6, v11
	v_mul_f16_sdwa v38, v19, s1 dst_sel:DWORD dst_unused:UNUSED_PAD src0_sel:WORD_1 src1_sel:DWORD
	v_add_f16_sdwa v20, v17, v20 dst_sel:DWORD dst_unused:UNUSED_PAD src0_sel:WORD_1 src1_sel:DWORD
	v_fma_f16 v25, v27, s7, -v25
	v_mul_f16_e32 v33, 0xb482, v32
	v_lshrrev_b32_e32 v35, 16, v34
	s_mov_b32 s6, 0xbbad
	v_fma_f16 v39, v21, s0, -v38
	v_mul_f16_sdwa v40, v24, s11 dst_sel:DWORD dst_unused:UNUSED_PAD src0_sel:WORD_1 src1_sel:DWORD
	v_add_f16_e32 v20, v25, v20
	v_fma_f16 v25, v31, s9, -v29
	s_mov_b32 s10, 0xb853
	v_add_f16_e32 v39, v17, v39
	v_fma_f16 v41, v26, s7, -v40
	v_add_f16_e32 v20, v25, v20
	v_fma_f16 v25, v35, s6, -v33
	v_add_f16_e32 v39, v41, v39
	v_mul_f16_sdwa v41, v28, s10 dst_sel:DWORD dst_unused:UNUSED_PAD src0_sel:WORD_1 src1_sel:DWORD
	v_add_f16_e32 v20, v25, v20
	v_fma_f16 v25, v21, s0, v38
	s_mov_b32 s8, 0xb482
	v_fma_f16 v42, v30, s9, -v41
	v_add_f16_e32 v25, v17, v25
	v_fma_f16 v29, v26, s7, v40
	v_add_f16_e32 v39, v42, v39
	v_mul_f16_sdwa v42, v32, s8 dst_sel:DWORD dst_unused:UNUSED_PAD src0_sel:WORD_1 src1_sel:DWORD
	v_add_f16_e32 v25, v29, v25
	v_fma_f16 v29, v30, s9, v41
	v_add_f16_e32 v25, v29, v25
	v_fma_f16 v29, v34, s6, v42
	v_mul_f16_e32 v22, 0xb08e, v22
	v_add_f16_e32 v25, v29, v25
	v_fma_f16 v29, v19, s11, v22
	v_mul_f16_e32 v27, 0xbbad, v27
	v_fma_f16 v36, v35, s6, v33
	v_add_f16_sdwa v29, v17, v29 dst_sel:DWORD dst_unused:UNUSED_PAD src0_sel:WORD_1 src1_sel:DWORD
	v_fma_f16 v33, v24, s8, v27
	v_mul_f16_e32 v31, 0x36a6, v31
	s_mov_b32 s14, 0xbb47
	v_pk_add_f16 v12, v17, v12
	v_add_f16_e32 v29, v33, v29
	v_fma_f16 v33, v28, s14, v31
	v_pk_add_f16 v12, v12, v13
	v_add_f16_e32 v29, v33, v29
	v_mul_f16_e32 v33, 0x3abb, v35
	s_movk_i32 s15, 0x3853
	s_mov_b32 s16, 0xbbeb
	v_pk_add_f16 v10, v12, v10
	v_fma_f16 v35, v32, s15, v33
	s_movk_i32 s17, 0x3482
	v_pk_add_f16 v10, v10, v11
	v_fma_f16 v11, v19, s16, v22
	s_movk_i32 s12, 0x3b47
	v_add_f16_e32 v29, v35, v29
	v_mul_f16_sdwa v35, v19, s16 dst_sel:DWORD dst_unused:UNUSED_PAD src0_sel:WORD_1 src1_sel:DWORD
	v_add_f16_sdwa v11, v17, v11 dst_sel:DWORD dst_unused:UNUSED_PAD src0_sel:WORD_1 src1_sel:DWORD
	v_fma_f16 v12, v24, s17, v27
	v_fma_f16 v38, v21, s7, v35
	v_mul_f16_sdwa v40, v24, s17 dst_sel:DWORD dst_unused:UNUSED_PAD src0_sel:WORD_1 src1_sel:DWORD
	v_add_f16_e32 v11, v12, v11
	v_fma_f16 v12, v28, s12, v31
	v_add_f16_e32 v38, v17, v38
	v_fma_f16 v41, v26, s6, v40
	;; [unrolled: 2-line block ×3, first 2 shown]
	s_movk_i32 s13, 0x36a6
	v_add_f16_e32 v38, v41, v38
	v_mul_f16_sdwa v41, v28, s12 dst_sel:DWORD dst_unused:UNUSED_PAD src0_sel:WORD_1 src1_sel:DWORD
	v_add_f16_e32 v11, v12, v11
	v_fma_f16 v12, v21, s7, -v35
	v_fma_f16 v43, v34, s6, -v42
	v_fma_f16 v42, v30, s13, v41
	v_add_f16_e32 v12, v17, v12
	v_fma_f16 v13, v26, s6, -v40
	v_add_f16_e32 v38, v42, v38
	v_mul_f16_sdwa v42, v32, s10 dst_sel:DWORD dst_unused:UNUSED_PAD src0_sel:WORD_1 src1_sel:DWORD
	v_add_f16_e32 v12, v13, v12
	v_fma_f16 v13, v30, s13, -v41
	v_add_f16_e32 v23, v36, v23
	v_pk_add_f16 v36, v8, v9 neg_lo:[0,1] neg_hi:[0,1]
	v_pk_add_f16 v10, v10, v8
	v_add_f16_e32 v12, v13, v12
	v_fma_f16 v13, v34, s9, -v42
	v_pk_add_f16 v8, v9, v8
	v_mul_f16_e32 v37, 0x3b47, v36
	v_pk_add_f16 v10, v10, v9
	v_add_f16_e32 v12, v13, v12
	v_mul_u32_u24_e32 v13, 40, v2
	v_lshrrev_b32_e32 v9, 16, v8
	v_fma_f16 v44, v34, s9, v42
	v_add3_u32 v13, v18, v13, v16
	v_pk_add_f16 v6, v10, v6
	v_fma_f16 v10, v9, s13, v37
	v_fma_f16 v18, v9, s13, -v37
	v_mul_f16_e32 v9, 0xb93d, v9
	v_add_f16_e32 v38, v44, v38
	v_mul_f16_sdwa v44, v36, s1 dst_sel:DWORD dst_unused:UNUSED_PAD src0_sel:WORD_1 src1_sel:DWORD
	s_movk_i32 s18, 0x3a0c
	v_pk_add_f16 v6, v6, v7
	v_fma_f16 v7, v36, s1, v9
	v_add_f16_e32 v39, v43, v39
	v_mul_f16_sdwa v43, v36, s12 dst_sel:DWORD dst_unused:UNUSED_PAD src0_sel:WORD_1 src1_sel:DWORD
	v_fma_f16 v22, v36, s18, v9
	v_add_f16_e32 v7, v7, v11
	v_fma_f16 v9, v8, s0, -v44
	v_pk_mul_f16 v11, v19, s14 op_sel_hi:[1,0]
	v_add_f16_e32 v18, v18, v20
	v_fma_f16 v20, v8, s13, v43
	v_add_f16_e32 v9, v9, v12
	v_pk_fma_f16 v12, v21, s13, v11 op_sel:[0,0,1] op_sel_hi:[1,0,0]
	v_pk_fma_f16 v11, v21, s13, v11 op_sel:[0,0,1] op_sel_hi:[1,0,0] neg_lo:[0,0,1] neg_hi:[0,0,1]
	s_mov_b32 s18, 0xffff
	v_pk_mul_f16 v27, v24, s1 op_sel_hi:[1,0]
	v_add_f16_e32 v20, v20, v25
	v_add_f16_e32 v22, v22, v29
	v_bfi_b32 v25, s18, v12, v11
	v_pk_fma_f16 v29, v26, s0, v27 op_sel:[0,0,1] op_sel_hi:[1,0,0]
	v_pk_fma_f16 v27, v26, s0, v27 op_sel:[0,0,1] op_sel_hi:[1,0,0] neg_lo:[0,0,1] neg_hi:[0,0,1]
	v_pk_add_f16 v25, v17, v25
	v_bfi_b32 v31, s18, v29, v27
	v_pk_add_f16 v25, v31, v25
	v_pk_mul_f16 v31, v28, s17 op_sel_hi:[1,0]
	v_add_f16_e32 v10, v10, v23
	v_pk_fma_f16 v33, v30, s6, v31 op_sel:[0,0,1] op_sel_hi:[1,0,0]
	v_pk_fma_f16 v31, v30, s6, v31 op_sel:[0,0,1] op_sel_hi:[1,0,0] neg_lo:[0,0,1] neg_hi:[0,0,1]
	v_fma_f16 v23, v8, s0, v44
	v_bfi_b32 v35, s18, v33, v31
	v_pk_add_f16 v25, v35, v25
	v_pk_mul_f16 v35, v32, s11 op_sel_hi:[1,0]
	v_add_f16_e32 v23, v23, v38
	v_pk_fma_f16 v37, v34, s7, v35 op_sel:[0,0,1] op_sel_hi:[1,0,0]
	v_pk_fma_f16 v35, v34, s7, v35 op_sel:[0,0,1] op_sel_hi:[1,0,0] neg_lo:[0,0,1] neg_hi:[0,0,1]
	v_pk_add_f16 v12, v17, v12
	v_bfi_b32 v38, s18, v37, v35
	v_pk_add_f16 v25, v38, v25
	v_pk_mul_f16 v38, v36, s15 op_sel_hi:[1,0]
	v_pk_add_f16 v11, v17, v11
	v_pk_add_f16 v12, v29, v12
	;; [unrolled: 1-line block ×3, first 2 shown]
	v_pk_fma_f16 v27, v8, s9, v38 op_sel:[0,0,1] op_sel_hi:[1,0,0]
	v_pk_fma_f16 v29, v8, s9, v38 op_sel:[0,0,1] op_sel_hi:[1,0,0] neg_lo:[0,0,1] neg_hi:[0,0,1]
	v_pack_b32_f16 v18, v20, v18
	v_pk_add_f16 v12, v33, v12
	v_pk_add_f16 v11, v31, v11
	v_bfi_b32 v31, s18, v27, v29
	ds_write_b32 v13, v18 offset:16
	v_pk_mul_f16 v18, v21, s6 op_sel_hi:[1,0]
	v_pk_add_f16 v12, v37, v12
	v_pk_add_f16 v25, v31, v25
	v_pack_b32_f16 v22, v23, v22
	v_pk_fma_f16 v20, v19, s8, v18 op_sel:[0,0,1] op_sel_hi:[1,0,0]
	v_pk_mul_f16 v23, v26, s9 op_sel_hi:[1,0]
	v_pk_fma_f16 v18, v19, s8, v18 op_sel:[0,0,1] op_sel_hi:[1,0,0] neg_lo:[1,0,0] neg_hi:[1,0,0]
	v_pk_add_f16 v12, v27, v12
	ds_write2_b32 v13, v25, v22 offset0:2 offset1:3
	v_pk_fma_f16 v25, v24, s15, v23 op_sel:[0,0,1] op_sel_hi:[1,0,0]
	v_pk_mul_f16 v27, v30, s0 op_sel_hi:[1,0]
	v_pk_add_f16 v18, v17, v18 op_sel:[1,0] op_sel_hi:[0,1]
	v_pk_fma_f16 v23, v24, s15, v23 op_sel:[0,0,1] op_sel_hi:[1,0,0] neg_lo:[1,0,0] neg_hi:[1,0,0]
	v_alignbit_b32 v22, s0, v17, 16
	v_pk_mul_f16 v31, v34, s13 op_sel_hi:[1,0]
	v_pk_add_f16 v18, v23, v18
	v_pk_fma_f16 v23, v28, s1, v27 op_sel:[0,0,1] op_sel_hi:[1,0,0] neg_lo:[1,0,0] neg_hi:[1,0,0]
	v_pk_add_f16 v11, v35, v11
	v_pk_add_f16 v22, v22, v20
	;; [unrolled: 1-line block ×3, first 2 shown]
	v_pk_fma_f16 v23, v32, s12, v31 op_sel:[0,0,1] op_sel_hi:[1,0,0] neg_lo:[1,0,0] neg_hi:[1,0,0]
	v_alignbit_b32 v20, s0, v20, 16
	v_pk_add_f16 v11, v29, v11
	v_pk_fma_f16 v29, v28, s1, v27 op_sel:[0,0,1] op_sel_hi:[1,0,0]
	v_pk_add_f16 v18, v23, v18
	v_pk_add_f16 v20, v17, v20
	v_alignbit_b32 v23, s0, v25, 16
	v_pk_fma_f16 v33, v32, s12, v31 op_sel:[0,0,1] op_sel_hi:[1,0,0]
	v_pk_add_f16 v20, v23, v20
	v_alignbit_b32 v23, s0, v29, 16
	v_pk_add_f16 v20, v23, v20
	v_alignbit_b32 v23, s0, v33, 16
	v_pk_add_f16 v22, v25, v22
	v_pk_add_f16 v20, v23, v20
	v_pk_mul_f16 v23, v8, s7 op_sel_hi:[1,0]
	v_fma_f16 v16, v8, s13, -v43
	v_pk_add_f16 v22, v29, v22
	v_pk_fma_f16 v25, v36, s16, v23 op_sel:[0,0,1] op_sel_hi:[1,0,0]
	v_pk_fma_f16 v23, v36, s16, v23 op_sel:[0,0,1] op_sel_hi:[1,0,0] neg_lo:[1,0,0] neg_hi:[1,0,0]
	v_add_f16_e32 v16, v16, v39
	v_pk_add_f16 v22, v33, v22
	v_pk_add_f16 v18, v23, v18
	v_alignbit_b32 v23, s0, v25, 16
	v_pk_add_f16 v22, v25, v22
	v_pk_add_f16 v20, v23, v20
	v_pack_b32_f16 v7, v9, v7
	v_pack_b32_f16 v9, v16, v10
	v_alignbit_b32 v22, v22, v18, 16
	v_pack_b32_f16 v18, v20, v18
	ds_write2_b32 v13, v9, v7 offset0:7 offset1:8
	v_pk_mul_f16 v7, v19, s10 op_sel_hi:[1,0]
	ds_write2_b32 v13, v18, v22 offset0:5 offset1:6
	v_pk_mul_f16 v9, v24, s14 op_sel_hi:[1,0]
	v_pk_fma_f16 v18, v21, s9, v7 op_sel:[0,0,1] op_sel_hi:[1,0,0]
	v_pk_fma_f16 v7, v21, s9, v7 op_sel:[0,0,1] op_sel_hi:[1,0,0] neg_lo:[0,0,1] neg_hi:[0,0,1]
	v_pk_fma_f16 v20, v26, s13, v9 op_sel:[0,0,1] op_sel_hi:[1,0,0]
	v_bfi_b32 v19, s18, v18, v7
	v_pk_fma_f16 v9, v26, s13, v9 op_sel:[0,0,1] op_sel_hi:[1,0,0] neg_lo:[0,0,1] neg_hi:[0,0,1]
	v_pk_mul_f16 v10, v28, s16 op_sel_hi:[1,0]
	v_pk_add_f16 v19, v17, v19
	v_bfi_b32 v21, s18, v20, v9
	v_pk_add_f16 v19, v21, v19
	v_pk_fma_f16 v21, v30, s7, v10 op_sel:[0,0,1] op_sel_hi:[1,0,0]
	v_pk_fma_f16 v10, v30, s7, v10 op_sel:[0,0,1] op_sel_hi:[1,0,0] neg_lo:[0,0,1] neg_hi:[0,0,1]
	v_pk_mul_f16 v16, v32, s1 op_sel_hi:[1,0]
	v_bfi_b32 v22, s18, v21, v10
	v_pk_add_f16 v19, v22, v19
	v_pk_fma_f16 v22, v34, s0, v16 op_sel:[0,0,1] op_sel_hi:[1,0,0]
	v_pk_fma_f16 v16, v34, s0, v16 op_sel:[0,0,1] op_sel_hi:[1,0,0] neg_lo:[0,0,1] neg_hi:[0,0,1]
	v_bfi_b32 v7, s18, v7, v18
	v_bfi_b32 v23, s18, v22, v16
	v_pk_add_f16 v7, v17, v7
	v_bfi_b32 v9, s18, v9, v20
	v_pk_add_f16 v19, v23, v19
	v_pk_mul_f16 v23, v36, s8 op_sel_hi:[1,0]
	v_pk_add_f16 v7, v9, v7
	v_bfi_b32 v9, s18, v10, v21
	v_pk_add_f16 v7, v9, v7
	v_bfi_b32 v9, s18, v16, v22
	v_pk_add_f16 v4, v6, v4
	v_pk_fma_f16 v6, v8, s6, v23 op_sel:[0,0,1] op_sel_hi:[1,0,0] neg_lo:[0,0,1] neg_hi:[0,0,1]
	v_pk_fma_f16 v8, v8, s6, v23 op_sel:[0,0,1] op_sel_hi:[1,0,0]
	v_pk_add_f16 v7, v9, v7
	v_bfi_b32 v9, s18, v8, v6
	v_pk_add_f16 v9, v9, v19
	v_pk_add_f16 v4, v4, v5
	v_bfi_b32 v5, s18, v6, v8
	v_pk_add_f16 v5, v5, v7
	ds_write2_b32 v13, v4, v9 offset1:1
	v_bfi_b32 v4, s18, v11, v12
	ds_write2_b32 v13, v4, v5 offset0:9 offset1:10
.LBB0_18:
	s_or_b64 exec, exec, s[2:3]
	v_mul_u32_u24_e32 v4, 7, v2
	v_lshlrev_b32_e32 v11, 2, v4
	s_waitcnt lgkmcnt(0)
	s_barrier
	global_load_dwordx4 v[4:7], v11, s[4:5]
	global_load_dwordx3 v[8:10], v11, s[4:5] offset:16
	ds_read2_b32 v[12:13], v3 offset0:11 offset1:22
	ds_read_b32 v11, v15
	ds_read_u16 v15, v3 offset:266
	ds_read_b32 v20, v3 offset:308
	ds_read2_b32 v[16:17], v3 offset0:33 offset1:44
	ds_read2_b32 v[18:19], v3 offset0:55 offset1:66
	s_waitcnt lgkmcnt(5)
	v_lshrrev_b32_e32 v22, 16, v12
	v_lshrrev_b32_e32 v23, 16, v13
	s_waitcnt lgkmcnt(2)
	v_lshrrev_b32_e32 v21, 16, v20
	s_waitcnt lgkmcnt(1)
	v_lshrrev_b32_e32 v24, 16, v16
	v_lshrrev_b32_e32 v25, 16, v17
	s_waitcnt lgkmcnt(0)
	v_lshrrev_b32_e32 v26, 16, v18
	v_lshrrev_b32_e32 v27, 16, v11
	s_mov_b32 s0, 0xb9a8
	s_movk_i32 s1, 0x39a8
	s_barrier
	s_waitcnt vmcnt(1)
	v_mul_f16_sdwa v28, v4, v22 dst_sel:DWORD dst_unused:UNUSED_PAD src0_sel:WORD_1 src1_sel:DWORD
	v_mul_f16_sdwa v29, v4, v12 dst_sel:DWORD dst_unused:UNUSED_PAD src0_sel:WORD_1 src1_sel:DWORD
	;; [unrolled: 1-line block ×8, first 2 shown]
	s_waitcnt vmcnt(0)
	v_mul_f16_sdwa v36, v8, v26 dst_sel:DWORD dst_unused:UNUSED_PAD src0_sel:WORD_1 src1_sel:DWORD
	v_mul_f16_sdwa v37, v8, v18 dst_sel:DWORD dst_unused:UNUSED_PAD src0_sel:WORD_1 src1_sel:DWORD
	v_mul_f16_sdwa v38, v15, v9 dst_sel:DWORD dst_unused:UNUSED_PAD src0_sel:DWORD src1_sel:WORD_1
	v_mul_f16_sdwa v39, v9, v19 dst_sel:DWORD dst_unused:UNUSED_PAD src0_sel:WORD_1 src1_sel:DWORD
	v_mul_f16_sdwa v40, v21, v10 dst_sel:DWORD dst_unused:UNUSED_PAD src0_sel:DWORD src1_sel:WORD_1
	v_mul_f16_sdwa v41, v20, v10 dst_sel:DWORD dst_unused:UNUSED_PAD src0_sel:DWORD src1_sel:WORD_1
	v_fma_f16 v12, v4, v12, v28
	v_fma_f16 v4, v4, v22, -v29
	v_fma_f16 v13, v5, v13, v30
	v_fma_f16 v5, v5, v23, -v31
	;; [unrolled: 2-line block ×7, first 2 shown]
	v_sub_f16_e32 v17, v11, v17
	v_sub_f16_e32 v7, v27, v7
	;; [unrolled: 1-line block ×8, first 2 shown]
	v_fma_f16 v11, v11, 2.0, -v17
	v_fma_f16 v20, v27, 2.0, -v7
	;; [unrolled: 1-line block ×8, first 2 shown]
	v_add_f16_e32 v9, v17, v9
	v_sub_f16_e32 v19, v7, v19
	v_add_f16_e32 v10, v18, v10
	v_sub_f16_e32 v15, v8, v15
	v_sub_f16_e32 v13, v11, v13
	;; [unrolled: 1-line block ×3, first 2 shown]
	v_fma_f16 v17, v17, 2.0, -v9
	v_fma_f16 v7, v7, 2.0, -v19
	v_sub_f16_e32 v16, v12, v16
	v_sub_f16_e32 v6, v4, v6
	v_fma_f16 v18, v18, 2.0, -v10
	v_fma_f16 v8, v8, 2.0, -v15
	;; [unrolled: 1-line block ×6, first 2 shown]
	v_fma_f16 v21, v18, s0, v17
	v_fma_f16 v22, v8, s0, v7
	v_sub_f16_e32 v12, v11, v12
	v_sub_f16_e32 v4, v20, v4
	v_fma_f16 v8, v8, s1, v21
	v_fma_f16 v18, v18, s0, v22
	;; [unrolled: 1-line block ×4, first 2 shown]
	v_fma_f16 v11, v11, 2.0, -v12
	v_fma_f16 v20, v20, 2.0, -v4
	;; [unrolled: 1-line block ×4, first 2 shown]
	v_add_f16_e32 v6, v13, v6
	v_sub_f16_e32 v16, v5, v16
	v_fma_f16 v15, v15, s1, v21
	v_fma_f16 v10, v10, s0, v22
	v_fma_f16 v13, v13, 2.0, -v6
	v_fma_f16 v5, v5, 2.0, -v16
	v_fma_f16 v9, v9, 2.0, -v15
	v_fma_f16 v19, v19, 2.0, -v10
	v_pack_b32_f16 v11, v11, v20
	v_pack_b32_f16 v7, v17, v7
	ds_write2_b32 v3, v11, v7 offset1:11
	v_pack_b32_f16 v5, v13, v5
	v_pack_b32_f16 v7, v9, v19
	ds_write2_b32 v3, v5, v7 offset0:22 offset1:33
	v_pack_b32_f16 v4, v12, v4
	v_pack_b32_f16 v5, v8, v18
	ds_write2_b32 v3, v4, v5 offset0:44 offset1:55
	;; [unrolled: 3-line block ×3, first 2 shown]
	s_waitcnt lgkmcnt(0)
	s_barrier
	s_and_saveexec_b64 s[0:1], vcc
	s_cbranch_execz .LBB0_20
; %bb.19:
	v_lshl_add_u32 v10, v2, 2, v14
	ds_read2_b32 v[4:5], v10 offset1:11
	v_mov_b32_e32 v3, 0
	v_lshl_add_u64 v[8:9], v[2:3], 2, v[0:1]
	v_add_u32_e32 v6, 11, v2
	v_mov_b32_e32 v7, v3
	s_waitcnt lgkmcnt(0)
	global_store_dword v[8:9], v4, off
	ds_read2_b32 v[8:9], v10 offset0:22 offset1:33
	v_lshl_add_u64 v[6:7], v[6:7], 2, v[0:1]
	global_store_dword v[6:7], v5, off
	v_add_u32_e32 v4, 22, v2
	v_mov_b32_e32 v5, v3
	v_lshl_add_u64 v[4:5], v[4:5], 2, v[0:1]
	ds_read2_b32 v[6:7], v10 offset0:44 offset1:55
	s_waitcnt lgkmcnt(1)
	global_store_dword v[4:5], v8, off
	v_add_u32_e32 v4, 33, v2
	v_mov_b32_e32 v5, v3
	v_lshl_add_u64 v[4:5], v[4:5], 2, v[0:1]
	global_store_dword v[4:5], v9, off
	v_add_u32_e32 v4, 44, v2
	v_mov_b32_e32 v5, v3
	v_lshl_add_u64 v[4:5], v[4:5], 2, v[0:1]
	ds_read2_b32 v[8:9], v10 offset0:66 offset1:77
	s_waitcnt lgkmcnt(1)
	global_store_dword v[4:5], v6, off
	v_add_u32_e32 v4, 55, v2
	v_mov_b32_e32 v5, v3
	v_lshl_add_u64 v[4:5], v[4:5], 2, v[0:1]
	global_store_dword v[4:5], v7, off
	v_add_u32_e32 v4, 0x42, v2
	v_mov_b32_e32 v5, v3
	v_add_u32_e32 v2, 0x4d, v2
	v_lshl_add_u64 v[4:5], v[4:5], 2, v[0:1]
	v_lshl_add_u64 v[0:1], v[2:3], 2, v[0:1]
	s_waitcnt lgkmcnt(0)
	global_store_dword v[4:5], v8, off
	global_store_dword v[0:1], v9, off
.LBB0_20:
	s_endpgm
	.section	.rodata,"a",@progbits
	.p2align	6, 0x0
	.amdhsa_kernel fft_rtc_back_len88_factors_11_8_wgs_121_tpt_11_halfLds_half_ip_CI_unitstride_sbrr_C2R_dirReg
		.amdhsa_group_segment_fixed_size 0
		.amdhsa_private_segment_fixed_size 0
		.amdhsa_kernarg_size 88
		.amdhsa_user_sgpr_count 2
		.amdhsa_user_sgpr_dispatch_ptr 0
		.amdhsa_user_sgpr_queue_ptr 0
		.amdhsa_user_sgpr_kernarg_segment_ptr 1
		.amdhsa_user_sgpr_dispatch_id 0
		.amdhsa_user_sgpr_kernarg_preload_length 0
		.amdhsa_user_sgpr_kernarg_preload_offset 0
		.amdhsa_user_sgpr_private_segment_size 0
		.amdhsa_uses_dynamic_stack 0
		.amdhsa_enable_private_segment 0
		.amdhsa_system_sgpr_workgroup_id_x 1
		.amdhsa_system_sgpr_workgroup_id_y 0
		.amdhsa_system_sgpr_workgroup_id_z 0
		.amdhsa_system_sgpr_workgroup_info 0
		.amdhsa_system_vgpr_workitem_id 0
		.amdhsa_next_free_vgpr 45
		.amdhsa_next_free_sgpr 22
		.amdhsa_accum_offset 48
		.amdhsa_reserve_vcc 1
		.amdhsa_float_round_mode_32 0
		.amdhsa_float_round_mode_16_64 0
		.amdhsa_float_denorm_mode_32 3
		.amdhsa_float_denorm_mode_16_64 3
		.amdhsa_dx10_clamp 1
		.amdhsa_ieee_mode 1
		.amdhsa_fp16_overflow 0
		.amdhsa_tg_split 0
		.amdhsa_exception_fp_ieee_invalid_op 0
		.amdhsa_exception_fp_denorm_src 0
		.amdhsa_exception_fp_ieee_div_zero 0
		.amdhsa_exception_fp_ieee_overflow 0
		.amdhsa_exception_fp_ieee_underflow 0
		.amdhsa_exception_fp_ieee_inexact 0
		.amdhsa_exception_int_div_zero 0
	.end_amdhsa_kernel
	.text
.Lfunc_end0:
	.size	fft_rtc_back_len88_factors_11_8_wgs_121_tpt_11_halfLds_half_ip_CI_unitstride_sbrr_C2R_dirReg, .Lfunc_end0-fft_rtc_back_len88_factors_11_8_wgs_121_tpt_11_halfLds_half_ip_CI_unitstride_sbrr_C2R_dirReg
                                        ; -- End function
	.section	.AMDGPU.csdata,"",@progbits
; Kernel info:
; codeLenInByte = 5292
; NumSgprs: 28
; NumVgprs: 45
; NumAgprs: 0
; TotalNumVgprs: 45
; ScratchSize: 0
; MemoryBound: 0
; FloatMode: 240
; IeeeMode: 1
; LDSByteSize: 0 bytes/workgroup (compile time only)
; SGPRBlocks: 3
; VGPRBlocks: 5
; NumSGPRsForWavesPerEU: 28
; NumVGPRsForWavesPerEU: 45
; AccumOffset: 48
; Occupancy: 8
; WaveLimiterHint : 1
; COMPUTE_PGM_RSRC2:SCRATCH_EN: 0
; COMPUTE_PGM_RSRC2:USER_SGPR: 2
; COMPUTE_PGM_RSRC2:TRAP_HANDLER: 0
; COMPUTE_PGM_RSRC2:TGID_X_EN: 1
; COMPUTE_PGM_RSRC2:TGID_Y_EN: 0
; COMPUTE_PGM_RSRC2:TGID_Z_EN: 0
; COMPUTE_PGM_RSRC2:TIDIG_COMP_CNT: 0
; COMPUTE_PGM_RSRC3_GFX90A:ACCUM_OFFSET: 11
; COMPUTE_PGM_RSRC3_GFX90A:TG_SPLIT: 0
	.text
	.p2alignl 6, 3212836864
	.fill 256, 4, 3212836864
	.type	__hip_cuid_ad75f41087f4f299,@object ; @__hip_cuid_ad75f41087f4f299
	.section	.bss,"aw",@nobits
	.globl	__hip_cuid_ad75f41087f4f299
__hip_cuid_ad75f41087f4f299:
	.byte	0                               ; 0x0
	.size	__hip_cuid_ad75f41087f4f299, 1

	.ident	"AMD clang version 19.0.0git (https://github.com/RadeonOpenCompute/llvm-project roc-6.4.0 25133 c7fe45cf4b819c5991fe208aaa96edf142730f1d)"
	.section	".note.GNU-stack","",@progbits
	.addrsig
	.addrsig_sym __hip_cuid_ad75f41087f4f299
	.amdgpu_metadata
---
amdhsa.kernels:
  - .agpr_count:     0
    .args:
      - .actual_access:  read_only
        .address_space:  global
        .offset:         0
        .size:           8
        .value_kind:     global_buffer
      - .offset:         8
        .size:           8
        .value_kind:     by_value
      - .actual_access:  read_only
        .address_space:  global
        .offset:         16
        .size:           8
        .value_kind:     global_buffer
      - .actual_access:  read_only
        .address_space:  global
        .offset:         24
        .size:           8
        .value_kind:     global_buffer
      - .offset:         32
        .size:           8
        .value_kind:     by_value
      - .actual_access:  read_only
        .address_space:  global
        .offset:         40
        .size:           8
        .value_kind:     global_buffer
      - .actual_access:  read_only
        .address_space:  global
        .offset:         48
        .size:           8
        .value_kind:     global_buffer
      - .offset:         56
        .size:           4
        .value_kind:     by_value
      - .actual_access:  read_only
        .address_space:  global
        .offset:         64
        .size:           8
        .value_kind:     global_buffer
      - .actual_access:  read_only
        .address_space:  global
        .offset:         72
        .size:           8
        .value_kind:     global_buffer
      - .address_space:  global
        .offset:         80
        .size:           8
        .value_kind:     global_buffer
    .group_segment_fixed_size: 0
    .kernarg_segment_align: 8
    .kernarg_segment_size: 88
    .language:       OpenCL C
    .language_version:
      - 2
      - 0
    .max_flat_workgroup_size: 121
    .name:           fft_rtc_back_len88_factors_11_8_wgs_121_tpt_11_halfLds_half_ip_CI_unitstride_sbrr_C2R_dirReg
    .private_segment_fixed_size: 0
    .sgpr_count:     28
    .sgpr_spill_count: 0
    .symbol:         fft_rtc_back_len88_factors_11_8_wgs_121_tpt_11_halfLds_half_ip_CI_unitstride_sbrr_C2R_dirReg.kd
    .uniform_work_group_size: 1
    .uses_dynamic_stack: false
    .vgpr_count:     45
    .vgpr_spill_count: 0
    .wavefront_size: 64
amdhsa.target:   amdgcn-amd-amdhsa--gfx950
amdhsa.version:
  - 1
  - 2
...

	.end_amdgpu_metadata
